;; amdgpu-corpus repo=ROCm/rocFFT kind=compiled arch=gfx950 opt=O3
	.text
	.amdgcn_target "amdgcn-amd-amdhsa--gfx950"
	.amdhsa_code_object_version 6
	.protected	fft_rtc_back_len4096_factors_16_16_16_wgs_256_tpt_256_halfLds_dp_ip_CI_unitstride_sbrr_C2R_dirReg ; -- Begin function fft_rtc_back_len4096_factors_16_16_16_wgs_256_tpt_256_halfLds_dp_ip_CI_unitstride_sbrr_C2R_dirReg
	.globl	fft_rtc_back_len4096_factors_16_16_16_wgs_256_tpt_256_halfLds_dp_ip_CI_unitstride_sbrr_C2R_dirReg
	.p2align	8
	.type	fft_rtc_back_len4096_factors_16_16_16_wgs_256_tpt_256_halfLds_dp_ip_CI_unitstride_sbrr_C2R_dirReg,@function
fft_rtc_back_len4096_factors_16_16_16_wgs_256_tpt_256_halfLds_dp_ip_CI_unitstride_sbrr_C2R_dirReg: ; @fft_rtc_back_len4096_factors_16_16_16_wgs_256_tpt_256_halfLds_dp_ip_CI_unitstride_sbrr_C2R_dirReg
; %bb.0:
	s_load_dwordx2 s[8:9], s[0:1], 0x50
	s_load_dwordx4 s[4:7], s[0:1], 0x0
	s_load_dwordx2 s[10:11], s[0:1], 0x18
	v_mov_b32_e32 v6, s2
	v_mov_b32_e32 v4, 0
	v_mov_b32_e32 v7, v4
	s_waitcnt lgkmcnt(0)
	v_cmp_lt_u64_e64 s[2:3], s[6:7], 2
	s_and_b64 vcc, exec, s[2:3]
	v_mov_b64_e32 v[2:3], 0
	s_cbranch_vccnz .LBB0_8
; %bb.1:
	s_load_dwordx2 s[2:3], s[0:1], 0x10
	s_add_u32 s12, s10, 8
	s_addc_u32 s13, s11, 0
	s_mov_b64 s[14:15], 1
	v_mov_b64_e32 v[2:3], 0
	s_waitcnt lgkmcnt(0)
	s_add_u32 s16, s2, 8
	s_addc_u32 s17, s3, 0
.LBB0_2:                                ; =>This Inner Loop Header: Depth=1
	s_load_dwordx2 s[18:19], s[16:17], 0x0
                                        ; implicit-def: $vgpr8_vgpr9
	s_waitcnt lgkmcnt(0)
	v_or_b32_e32 v5, s19, v7
	v_cmp_ne_u64_e32 vcc, 0, v[4:5]
	s_and_saveexec_b64 s[2:3], vcc
	s_xor_b64 s[20:21], exec, s[2:3]
	s_cbranch_execz .LBB0_4
; %bb.3:                                ;   in Loop: Header=BB0_2 Depth=1
	v_cvt_f32_u32_e32 v1, s18
	v_cvt_f32_u32_e32 v5, s19
	s_sub_u32 s2, 0, s18
	s_subb_u32 s3, 0, s19
	v_fmac_f32_e32 v1, 0x4f800000, v5
	v_rcp_f32_e32 v1, v1
	s_nop 0
	v_mul_f32_e32 v1, 0x5f7ffffc, v1
	v_mul_f32_e32 v5, 0x2f800000, v1
	v_trunc_f32_e32 v5, v5
	v_fmac_f32_e32 v1, 0xcf800000, v5
	v_cvt_u32_f32_e32 v5, v5
	v_cvt_u32_f32_e32 v1, v1
	v_mul_lo_u32 v8, s2, v5
	v_mul_hi_u32 v10, s2, v1
	v_mul_lo_u32 v9, s3, v1
	v_add_u32_e32 v10, v10, v8
	v_mul_lo_u32 v12, s2, v1
	v_add_u32_e32 v13, v10, v9
	v_mul_hi_u32 v8, v1, v12
	v_mul_hi_u32 v11, v1, v13
	v_mul_lo_u32 v10, v1, v13
	v_mov_b32_e32 v9, v4
	v_lshl_add_u64 v[8:9], v[8:9], 0, v[10:11]
	v_mul_hi_u32 v11, v5, v12
	v_mul_lo_u32 v12, v5, v12
	v_add_co_u32_e32 v8, vcc, v8, v12
	v_mul_hi_u32 v10, v5, v13
	s_nop 0
	v_addc_co_u32_e32 v8, vcc, v9, v11, vcc
	v_mov_b32_e32 v9, v4
	s_nop 0
	v_addc_co_u32_e32 v11, vcc, 0, v10, vcc
	v_mul_lo_u32 v10, v5, v13
	v_lshl_add_u64 v[8:9], v[8:9], 0, v[10:11]
	v_add_co_u32_e32 v1, vcc, v1, v8
	v_mul_lo_u32 v10, s2, v1
	s_nop 0
	v_addc_co_u32_e32 v5, vcc, v5, v9, vcc
	v_mul_lo_u32 v8, s2, v5
	v_mul_hi_u32 v9, s2, v1
	v_add_u32_e32 v8, v9, v8
	v_mul_lo_u32 v9, s3, v1
	v_add_u32_e32 v12, v8, v9
	v_mul_hi_u32 v14, v5, v10
	v_mul_lo_u32 v15, v5, v10
	v_mul_hi_u32 v9, v1, v12
	v_mul_lo_u32 v8, v1, v12
	v_mul_hi_u32 v10, v1, v10
	v_mov_b32_e32 v11, v4
	v_lshl_add_u64 v[8:9], v[10:11], 0, v[8:9]
	v_add_co_u32_e32 v8, vcc, v8, v15
	v_mul_hi_u32 v13, v5, v12
	s_nop 0
	v_addc_co_u32_e32 v8, vcc, v9, v14, vcc
	v_mul_lo_u32 v10, v5, v12
	s_nop 0
	v_addc_co_u32_e32 v11, vcc, 0, v13, vcc
	v_mov_b32_e32 v9, v4
	v_lshl_add_u64 v[8:9], v[8:9], 0, v[10:11]
	v_add_co_u32_e32 v1, vcc, v1, v8
	v_mul_hi_u32 v10, v6, v1
	s_nop 0
	v_addc_co_u32_e32 v5, vcc, v5, v9, vcc
	v_mad_u64_u32 v[8:9], s[2:3], v6, v5, 0
	v_mov_b32_e32 v11, v4
	v_lshl_add_u64 v[8:9], v[10:11], 0, v[8:9]
	v_mad_u64_u32 v[12:13], s[2:3], v7, v1, 0
	v_add_co_u32_e32 v1, vcc, v8, v12
	v_mad_u64_u32 v[10:11], s[2:3], v7, v5, 0
	s_nop 0
	v_addc_co_u32_e32 v8, vcc, v9, v13, vcc
	v_mov_b32_e32 v9, v4
	s_nop 0
	v_addc_co_u32_e32 v11, vcc, 0, v11, vcc
	v_lshl_add_u64 v[8:9], v[8:9], 0, v[10:11]
	v_mul_lo_u32 v1, s19, v8
	v_mul_lo_u32 v5, s18, v9
	v_mad_u64_u32 v[10:11], s[2:3], s18, v8, 0
	v_add3_u32 v1, v11, v5, v1
	v_sub_u32_e32 v5, v7, v1
	v_mov_b32_e32 v11, s19
	v_sub_co_u32_e32 v14, vcc, v6, v10
	v_lshl_add_u64 v[12:13], v[8:9], 0, 1
	s_nop 0
	v_subb_co_u32_e64 v5, s[2:3], v5, v11, vcc
	v_subrev_co_u32_e64 v10, s[2:3], s18, v14
	v_subb_co_u32_e32 v1, vcc, v7, v1, vcc
	s_nop 0
	v_subbrev_co_u32_e64 v5, s[2:3], 0, v5, s[2:3]
	v_cmp_le_u32_e64 s[2:3], s19, v5
	v_cmp_le_u32_e32 vcc, s19, v1
	s_nop 0
	v_cndmask_b32_e64 v11, 0, -1, s[2:3]
	v_cmp_le_u32_e64 s[2:3], s18, v10
	s_nop 1
	v_cndmask_b32_e64 v10, 0, -1, s[2:3]
	v_cmp_eq_u32_e64 s[2:3], s19, v5
	s_nop 1
	v_cndmask_b32_e64 v5, v11, v10, s[2:3]
	v_lshl_add_u64 v[10:11], v[8:9], 0, 2
	v_cmp_ne_u32_e64 s[2:3], 0, v5
	s_nop 1
	v_cndmask_b32_e64 v5, v13, v11, s[2:3]
	v_cndmask_b32_e64 v11, 0, -1, vcc
	v_cmp_le_u32_e32 vcc, s18, v14
	s_nop 1
	v_cndmask_b32_e64 v13, 0, -1, vcc
	v_cmp_eq_u32_e32 vcc, s19, v1
	s_nop 1
	v_cndmask_b32_e32 v1, v11, v13, vcc
	v_cmp_ne_u32_e32 vcc, 0, v1
	v_cndmask_b32_e64 v1, v12, v10, s[2:3]
	s_nop 0
	v_cndmask_b32_e32 v9, v9, v5, vcc
	v_cndmask_b32_e32 v8, v8, v1, vcc
.LBB0_4:                                ;   in Loop: Header=BB0_2 Depth=1
	s_andn2_saveexec_b64 s[2:3], s[20:21]
	s_cbranch_execz .LBB0_6
; %bb.5:                                ;   in Loop: Header=BB0_2 Depth=1
	v_cvt_f32_u32_e32 v1, s18
	s_sub_i32 s20, 0, s18
	v_rcp_iflag_f32_e32 v1, v1
	s_nop 0
	v_mul_f32_e32 v1, 0x4f7ffffe, v1
	v_cvt_u32_f32_e32 v1, v1
	v_mul_lo_u32 v5, s20, v1
	v_mul_hi_u32 v5, v1, v5
	v_add_u32_e32 v1, v1, v5
	v_mul_hi_u32 v1, v6, v1
	v_mul_lo_u32 v5, v1, s18
	v_sub_u32_e32 v5, v6, v5
	v_add_u32_e32 v8, 1, v1
	v_subrev_u32_e32 v9, s18, v5
	v_cmp_le_u32_e32 vcc, s18, v5
	s_nop 1
	v_cndmask_b32_e32 v5, v5, v9, vcc
	v_cndmask_b32_e32 v1, v1, v8, vcc
	v_add_u32_e32 v8, 1, v1
	v_cmp_le_u32_e32 vcc, s18, v5
	v_mov_b32_e32 v9, v4
	s_nop 0
	v_cndmask_b32_e32 v8, v1, v8, vcc
.LBB0_6:                                ;   in Loop: Header=BB0_2 Depth=1
	s_or_b64 exec, exec, s[2:3]
	v_mad_u64_u32 v[10:11], s[2:3], v8, s18, 0
	s_load_dwordx2 s[2:3], s[12:13], 0x0
	v_mul_lo_u32 v1, v9, s18
	v_mul_lo_u32 v5, v8, s19
	v_add3_u32 v1, v11, v5, v1
	v_sub_co_u32_e32 v5, vcc, v6, v10
	s_add_u32 s14, s14, 1
	s_nop 0
	v_subb_co_u32_e32 v1, vcc, v7, v1, vcc
	s_addc_u32 s15, s15, 0
	s_waitcnt lgkmcnt(0)
	v_mul_lo_u32 v1, s2, v1
	v_mul_lo_u32 v6, s3, v5
	v_mad_u64_u32 v[2:3], s[2:3], s2, v5, v[2:3]
	s_add_u32 s12, s12, 8
	v_add3_u32 v3, v6, v3, v1
	s_addc_u32 s13, s13, 0
	v_mov_b64_e32 v[6:7], s[6:7]
	s_add_u32 s16, s16, 8
	v_cmp_ge_u64_e32 vcc, s[14:15], v[6:7]
	s_addc_u32 s17, s17, 0
	s_cbranch_vccnz .LBB0_9
; %bb.7:                                ;   in Loop: Header=BB0_2 Depth=1
	v_mov_b64_e32 v[6:7], v[8:9]
	s_branch .LBB0_2
.LBB0_8:
	v_mov_b64_e32 v[8:9], v[6:7]
.LBB0_9:
	s_lshl_b64 s[2:3], s[6:7], 3
	s_add_u32 s2, s10, s2
	s_addc_u32 s3, s11, s3
	s_load_dwordx2 s[6:7], s[2:3], 0x0
	s_load_dwordx2 s[10:11], s[0:1], 0x20
	v_lshlrev_b32_e32 v36, 4, v0
	v_mov_b32_e32 v38, v0
	s_waitcnt lgkmcnt(0)
	v_mul_lo_u32 v1, s6, v9
	v_mul_lo_u32 v4, s7, v8
	v_mad_u64_u32 v[2:3], s[0:1], s6, v8, v[2:3]
	v_add3_u32 v3, v4, v3, v1
	v_cmp_gt_u64_e32 vcc, s[10:11], v[8:9]
	v_lshl_add_u64 v[34:35], v[2:3], 4, s[8:9]
	s_and_saveexec_b64 s[2:3], vcc
	s_cbranch_execz .LBB0_13
; %bb.10:
	v_mov_b32_e32 v37, 0
	v_or_b32_e32 v8, 0x1000, v36
	v_mov_b32_e32 v9, v37
	v_lshl_add_u64 v[4:5], v[34:35], 0, v[36:37]
	v_lshl_add_u64 v[18:19], v[34:35], 0, v[8:9]
	v_or_b32_e32 v8, 0x2000, v36
	v_or_b32_e32 v2, 0x3000, v36
	v_mov_b32_e32 v3, v37
	global_load_dwordx4 v[4:7], v[4:5], off
	v_lshl_add_u64 v[20:21], v[34:35], 0, v[8:9]
	global_load_dwordx4 v[8:11], v[18:19], off
	global_load_dwordx4 v[12:15], v[20:21], off
	v_or_b32_e32 v18, 0x4000, v36
	v_mov_b32_e32 v19, v37
	v_lshl_add_u64 v[16:17], v[34:35], 0, v[2:3]
	v_or_b32_e32 v20, 0x5000, v36
	v_or_b32_e32 v22, 0x6000, v36
	;; [unrolled: 1-line block ×11, first 2 shown]
	v_mov_b32_e32 v21, v37
	v_mov_b32_e32 v23, v37
	;; [unrolled: 1-line block ×11, first 2 shown]
	v_lshl_add_u64 v[76:77], v[34:35], 0, v[18:19]
	v_add_u32_e32 v96, 0, v2
	v_add_u32_e32 v97, 0, v24
	;; [unrolled: 1-line block ×3, first 2 shown]
	v_lshl_add_u64 v[78:79], v[34:35], 0, v[20:21]
	v_lshl_add_u64 v[80:81], v[34:35], 0, v[22:23]
	;; [unrolled: 1-line block ×9, first 2 shown]
	global_load_dwordx4 v[16:19], v[16:17], off
	v_lshl_add_u64 v[94:95], v[34:35], 0, v[42:43]
	v_lshl_add_u64 v[2:3], v[34:35], 0, v[74:75]
	global_load_dwordx4 v[20:23], v[76:77], off
	global_load_dwordx4 v[24:27], v[78:79], off
	;; [unrolled: 1-line block ×12, first 2 shown]
	v_add_u32_e32 v32, 0, v36
	s_movk_i32 s0, 0xff
	v_add_u32_e32 v1, 0, v74
	v_cmp_eq_u32_e64 s[0:1], s0, v0
	s_waitcnt vmcnt(15)
	ds_write_b128 v32, v[4:7]
	s_waitcnt vmcnt(12)
	ds_write_b128 v96, v[16:19]
	ds_write_b128 v32, v[8:11] offset:4096
	ds_write_b128 v32, v[12:15] offset:8192
	s_waitcnt vmcnt(11)
	ds_write_b128 v32, v[20:23] offset:16384
	s_waitcnt vmcnt(10)
	;; [unrolled: 2-line block ×4, first 2 shown]
	ds_write_b128 v97, v[38:41]
	s_waitcnt vmcnt(7)
	ds_write_b128 v32, v[42:45] offset:32768
	s_waitcnt vmcnt(6)
	ds_write_b128 v32, v[46:49] offset:36864
	;; [unrolled: 2-line block ×3, first 2 shown]
	s_waitcnt vmcnt(4)
	ds_write_b128 v98, v[54:57]
	s_waitcnt vmcnt(3)
	ds_write_b128 v32, v[58:61] offset:49152
	s_waitcnt vmcnt(2)
	ds_write_b128 v32, v[62:65] offset:53248
	;; [unrolled: 2-line block ×3, first 2 shown]
	s_waitcnt vmcnt(0)
	ds_write_b128 v1, v[70:73]
	v_mov_b32_e32 v38, v0
	s_and_saveexec_b64 s[6:7], s[0:1]
	s_cbranch_execz .LBB0_12
; %bb.11:
	global_load_dwordx4 v[2:5], v[2:3], off offset:16
	v_mov_b32_e32 v38, 0xff
	s_waitcnt vmcnt(0)
	ds_write_b128 v1, v[2:5] offset:16
.LBB0_12:
	s_or_b64 exec, exec, s[6:7]
.LBB0_13:
	s_or_b64 exec, exec, s[2:3]
	v_sub_u32_e32 v1, 0x1000, v38
	v_lshl_add_u32 v37, v38, 4, 0
	s_waitcnt lgkmcnt(0)
	s_barrier
	v_lshl_add_u32 v6, v1, 4, 0
	ds_read_b64 v[4:5], v37
	ds_read_b64 v[8:9], v6
	s_add_u32 s2, s4, 0xff00
	s_addc_u32 s3, s5, 0
	v_cmp_ne_u32_e64 s[0:1], 0, v38
	v_lshlrev_b32_e32 v1, 4, v38
	s_waitcnt lgkmcnt(0)
	v_add_f64 v[2:3], v[4:5], v[8:9]
	v_add_f64 v[4:5], v[4:5], -v[8:9]
	s_and_saveexec_b64 s[6:7], s[0:1]
	s_xor_b64 s[0:1], exec, s[6:7]
	s_cbranch_execz .LBB0_15
; %bb.14:
	global_load_dwordx4 v[8:11], v1, s[2:3]
	ds_read_b64 v[12:13], v6 offset:8
	ds_read_b64 v[14:15], v37 offset:8
	s_waitcnt lgkmcnt(0)
	v_add_f64 v[18:19], v[12:13], v[14:15]
	v_add_f64 v[16:17], v[14:15], -v[12:13]
	s_waitcnt vmcnt(0)
	v_fma_f64 v[20:21], v[4:5], v[10:11], v[2:3]
	v_fma_f64 v[12:13], v[18:19], v[10:11], v[16:17]
	v_fma_f64 v[14:15], -v[4:5], v[10:11], v[2:3]
	v_fma_f64 v[16:17], v[18:19], v[10:11], -v[16:17]
	v_fma_f64 v[10:11], -v[18:19], v[8:9], v[20:21]
	v_fmac_f64_e32 v[12:13], v[4:5], v[8:9]
	v_fmac_f64_e32 v[14:15], v[18:19], v[8:9]
	;; [unrolled: 1-line block ×3, first 2 shown]
	ds_write_b128 v37, v[10:13]
	ds_write_b128 v6, v[14:17]
                                        ; implicit-def: $vgpr2_vgpr3
.LBB0_15:
	s_andn2_saveexec_b64 s[0:1], s[0:1]
	s_cbranch_execz .LBB0_17
; %bb.16:
	ds_write_b128 v37, v[2:5]
	v_mov_b32_e32 v6, 0
	ds_read_b128 v[2:5], v6 offset:32768
	s_waitcnt lgkmcnt(0)
	v_add_f64 v[2:3], v[2:3], v[2:3]
	v_mul_f64 v[4:5], v[4:5], -2.0
	ds_write_b128 v6, v[2:5] offset:32768
.LBB0_17:
	s_or_b64 exec, exec, s[0:1]
	v_or_b32_e32 v2, 0x1000, v1
	global_load_dwordx4 v[10:13], v2, s[2:3]
	v_or_b32_e32 v14, 0x4000, v1
	global_load_dwordx4 v[14:17], v14, s[2:3]
	;; [unrolled: 2-line block ×4, first 2 shown]
	v_sub_u32_e32 v44, 0, v1
	ds_read_b128 v[18:21], v37 offset:4096
	ds_read_b128 v[22:25], v44 offset:61440
	v_or_b32_e32 v26, 0x5000, v1
	global_load_dwordx4 v[26:29], v26, s[2:3]
	v_add_u32_e32 v39, 0, v39
	v_or_b32_e32 v45, 0x7000, v36
	s_waitcnt lgkmcnt(0)
	v_add_f64 v[30:31], v[18:19], v[22:23]
	v_add_f64 v[32:33], v[24:25], v[20:21]
	v_add_f64 v[40:41], v[18:19], -v[22:23]
	v_add_f64 v[18:19], v[20:21], -v[24:25]
	v_add_u32_e32 v66, 0, v45
	s_movk_i32 s0, 0xf0
	v_mad_u32_u24 v67, v38, s0, v37
	s_mov_b32 s0, 0x667f3bcd
	s_mov_b32 s1, 0xbfe6a09e
	;; [unrolled: 1-line block ×10, first 2 shown]
	s_movk_i32 s14, 0xf0f
	s_waitcnt vmcnt(4)
	v_fma_f64 v[42:43], v[40:41], v[12:13], v[30:31]
	v_fma_f64 v[20:21], v[32:33], v[12:13], v[18:19]
	v_fma_f64 v[22:23], -v[40:41], v[12:13], v[30:31]
	v_fma_f64 v[24:25], v[32:33], v[12:13], -v[18:19]
	v_fma_f64 v[18:19], -v[32:33], v[10:11], v[42:43]
	v_fmac_f64_e32 v[20:21], v[40:41], v[10:11]
	v_fmac_f64_e32 v[22:23], v[32:33], v[10:11]
	;; [unrolled: 1-line block ×3, first 2 shown]
	ds_write_b128 v37, v[18:21] offset:4096
	ds_write_b128 v44, v[22:25] offset:61440
	ds_read_b128 v[10:13], v37 offset:8192
	ds_read_b128 v[18:21], v44 offset:57344
	v_or_b32_e32 v24, 0x6000, v1
	s_waitcnt lgkmcnt(0)
	v_add_f64 v[22:23], v[10:11], v[18:19]
	v_add_f64 v[30:31], v[20:21], v[12:13]
	v_add_f64 v[32:33], v[10:11], -v[18:19]
	v_add_f64 v[18:19], v[12:13], -v[20:21]
	global_load_dwordx4 v[10:13], v24, s[2:3]
	s_waitcnt vmcnt(3)
	v_fma_f64 v[40:41], v[32:33], v[8:9], v[22:23]
	v_fma_f64 v[20:21], v[30:31], v[8:9], v[18:19]
	v_fma_f64 v[22:23], -v[32:33], v[8:9], v[22:23]
	v_fma_f64 v[24:25], v[30:31], v[8:9], -v[18:19]
	v_fma_f64 v[18:19], -v[30:31], v[6:7], v[40:41]
	v_fmac_f64_e32 v[20:21], v[32:33], v[6:7]
	v_fmac_f64_e32 v[22:23], v[30:31], v[6:7]
	;; [unrolled: 1-line block ×3, first 2 shown]
	ds_write_b128 v37, v[18:21] offset:8192
	ds_write_b128 v44, v[22:25] offset:57344
	ds_read_b128 v[6:9], v39
	ds_read_b128 v[18:21], v44 offset:53248
	global_load_dwordx4 v[22:25], v45, s[2:3]
	s_mov_b32 s3, 0x3fe6a09e
	s_mov_b32 s2, s0
	s_waitcnt lgkmcnt(0)
	v_add_f64 v[30:31], v[6:7], v[18:19]
	v_add_f64 v[32:33], v[20:21], v[8:9]
	v_add_f64 v[40:41], v[6:7], -v[18:19]
	v_add_f64 v[8:9], v[8:9], -v[20:21]
	s_waitcnt vmcnt(3)
	v_fma_f64 v[42:43], v[40:41], v[4:5], v[30:31]
	v_fma_f64 v[6:7], v[32:33], v[4:5], v[8:9]
	v_fma_f64 v[18:19], -v[40:41], v[4:5], v[30:31]
	v_fma_f64 v[20:21], v[32:33], v[4:5], -v[8:9]
	v_fma_f64 v[4:5], -v[32:33], v[2:3], v[42:43]
	v_fmac_f64_e32 v[6:7], v[40:41], v[2:3]
	v_fmac_f64_e32 v[18:19], v[32:33], v[2:3]
	;; [unrolled: 1-line block ×3, first 2 shown]
	ds_write_b128 v39, v[4:7]
	ds_write_b128 v44, v[18:21] offset:53248
	ds_read_b128 v[2:5], v37 offset:16384
	ds_read_b128 v[6:9], v44 offset:49152
	s_waitcnt lgkmcnt(0)
	v_add_f64 v[18:19], v[2:3], v[6:7]
	v_add_f64 v[20:21], v[8:9], v[4:5]
	v_add_f64 v[30:31], v[2:3], -v[6:7]
	v_add_f64 v[2:3], v[4:5], -v[8:9]
	v_fma_f64 v[32:33], v[30:31], v[16:17], v[18:19]
	v_fma_f64 v[4:5], v[20:21], v[16:17], v[2:3]
	v_fma_f64 v[6:7], -v[30:31], v[16:17], v[18:19]
	v_fma_f64 v[8:9], v[20:21], v[16:17], -v[2:3]
	v_fma_f64 v[2:3], -v[20:21], v[14:15], v[32:33]
	v_fmac_f64_e32 v[4:5], v[30:31], v[14:15]
	v_fmac_f64_e32 v[6:7], v[20:21], v[14:15]
	;; [unrolled: 1-line block ×3, first 2 shown]
	ds_write_b128 v37, v[2:5] offset:16384
	ds_write_b128 v44, v[6:9] offset:49152
	ds_read_b128 v[2:5], v37 offset:20480
	ds_read_b128 v[6:9], v44 offset:45056
	s_waitcnt lgkmcnt(0)
	v_add_f64 v[14:15], v[2:3], v[6:7]
	v_add_f64 v[16:17], v[8:9], v[4:5]
	v_add_f64 v[18:19], v[2:3], -v[6:7]
	v_add_f64 v[2:3], v[4:5], -v[8:9]
	s_waitcnt vmcnt(2)
	v_fma_f64 v[20:21], v[18:19], v[28:29], v[14:15]
	v_fma_f64 v[4:5], v[16:17], v[28:29], v[2:3]
	v_fma_f64 v[6:7], -v[18:19], v[28:29], v[14:15]
	v_fma_f64 v[8:9], v[16:17], v[28:29], -v[2:3]
	v_fma_f64 v[2:3], -v[16:17], v[26:27], v[20:21]
	v_fmac_f64_e32 v[4:5], v[18:19], v[26:27]
	v_fmac_f64_e32 v[6:7], v[16:17], v[26:27]
	;; [unrolled: 1-line block ×3, first 2 shown]
	ds_write_b128 v37, v[2:5] offset:20480
	ds_write_b128 v44, v[6:9] offset:45056
	ds_read_b128 v[2:5], v37 offset:24576
	ds_read_b128 v[6:9], v44 offset:40960
	s_waitcnt lgkmcnt(0)
	v_add_f64 v[14:15], v[2:3], v[6:7]
	v_add_f64 v[16:17], v[8:9], v[4:5]
	v_add_f64 v[18:19], v[2:3], -v[6:7]
	v_add_f64 v[2:3], v[4:5], -v[8:9]
	s_waitcnt vmcnt(1)
	v_fma_f64 v[20:21], v[18:19], v[12:13], v[14:15]
	v_fma_f64 v[4:5], v[16:17], v[12:13], v[2:3]
	v_fma_f64 v[6:7], -v[18:19], v[12:13], v[14:15]
	v_fma_f64 v[8:9], v[16:17], v[12:13], -v[2:3]
	v_fma_f64 v[2:3], -v[16:17], v[10:11], v[20:21]
	v_fmac_f64_e32 v[4:5], v[18:19], v[10:11]
	v_fmac_f64_e32 v[6:7], v[16:17], v[10:11]
	;; [unrolled: 1-line block ×3, first 2 shown]
	ds_write_b128 v37, v[2:5] offset:24576
	ds_write_b128 v44, v[6:9] offset:40960
	ds_read_b128 v[2:5], v66
	ds_read_b128 v[6:9], v44 offset:36864
	s_waitcnt lgkmcnt(0)
	v_add_f64 v[10:11], v[2:3], v[6:7]
	v_add_f64 v[12:13], v[8:9], v[4:5]
	v_add_f64 v[14:15], v[2:3], -v[6:7]
	v_add_f64 v[2:3], v[4:5], -v[8:9]
	s_waitcnt vmcnt(0)
	v_fma_f64 v[16:17], v[14:15], v[24:25], v[10:11]
	v_fma_f64 v[4:5], v[12:13], v[24:25], v[2:3]
	v_fma_f64 v[6:7], -v[14:15], v[24:25], v[10:11]
	v_fma_f64 v[8:9], v[12:13], v[24:25], -v[2:3]
	v_fma_f64 v[2:3], -v[12:13], v[22:23], v[16:17]
	v_fmac_f64_e32 v[4:5], v[14:15], v[22:23]
	v_fmac_f64_e32 v[6:7], v[12:13], v[22:23]
	;; [unrolled: 1-line block ×3, first 2 shown]
	ds_write_b128 v66, v[2:5]
	ds_write_b128 v44, v[6:9] offset:36864
	s_waitcnt lgkmcnt(0)
	s_barrier
	s_barrier
	ds_read_b128 v[2:5], v37
	ds_read_b128 v[14:17], v37 offset:4096
	ds_read_b128 v[18:21], v37 offset:16384
	;; [unrolled: 1-line block ×8, first 2 shown]
	s_waitcnt lgkmcnt(4)
	v_add_f64 v[6:7], v[2:3], -v[6:7]
	v_add_f64 v[8:9], v[4:5], -v[8:9]
	v_fma_f64 v[22:23], v[2:3], 2.0, -v[6:7]
	v_fma_f64 v[32:33], v[4:5], 2.0, -v[8:9]
	ds_read_b128 v[2:5], v37 offset:8192
	s_waitcnt lgkmcnt(2)
	v_add_f64 v[10:11], v[18:19], -v[10:11]
	v_add_f64 v[12:13], v[20:21], -v[12:13]
	v_fma_f64 v[76:77], v[18:19], 2.0, -v[10:11]
	v_fma_f64 v[78:79], v[20:21], 2.0, -v[12:13]
	s_waitcnt lgkmcnt(0)
	v_add_f64 v[24:25], v[2:3], -v[24:25]
	v_add_f64 v[26:27], v[4:5], -v[26:27]
	ds_read_b128 v[18:21], v37 offset:57344
	ds_read_b128 v[50:53], v37 offset:12288
	;; [unrolled: 1-line block ×4, first 2 shown]
	v_fma_f64 v[80:81], v[2:3], 2.0, -v[24:25]
	v_fma_f64 v[82:83], v[4:5], 2.0, -v[26:27]
	ds_read_b128 v[2:5], v37 offset:28672
	ds_read_b128 v[72:75], v37 offset:61440
	v_add_f64 v[40:41], v[14:15], -v[40:41]
	s_waitcnt lgkmcnt(2)
	v_add_f64 v[56:57], v[68:69], -v[18:19]
	v_add_f64 v[64:65], v[70:71], -v[20:21]
	;; [unrolled: 1-line block ×7, first 2 shown]
	s_waitcnt lgkmcnt(0)
	v_add_f64 v[62:63], v[2:3], -v[72:73]
	v_add_f64 v[72:73], v[4:5], -v[74:75]
	v_fma_f64 v[68:69], v[68:69], 2.0, -v[56:57]
	v_fma_f64 v[70:71], v[70:71], 2.0, -v[64:65]
	;; [unrolled: 1-line block ×10, first 2 shown]
	v_add_f64 v[18:19], v[22:23], -v[76:77]
	v_add_f64 v[20:21], v[32:33], -v[78:79]
	v_fma_f64 v[74:75], v[22:23], 2.0, -v[18:19]
	v_fma_f64 v[76:77], v[32:33], 2.0, -v[20:21]
	v_add_f64 v[22:23], v[80:81], -v[68:69]
	v_add_f64 v[28:29], v[82:83], -v[70:71]
	;; [unrolled: 1-line block ×6, first 2 shown]
	v_fma_f64 v[68:69], v[80:81], 2.0, -v[22:23]
	v_fma_f64 v[70:71], v[82:83], 2.0, -v[28:29]
	;; [unrolled: 1-line block ×6, first 2 shown]
	v_add_f64 v[14:15], v[74:75], -v[68:69]
	v_add_f64 v[16:17], v[76:77], -v[70:71]
	;; [unrolled: 1-line block ×4, first 2 shown]
	v_fma_f64 v[68:69], v[74:75], 2.0, -v[14:15]
	v_fma_f64 v[70:71], v[76:77], 2.0, -v[16:17]
	;; [unrolled: 1-line block ×4, first 2 shown]
	v_add_f64 v[2:3], v[68:69], -v[2:3]
	v_add_f64 v[4:5], v[70:71], -v[4:5]
	v_fma_f64 v[68:69], v[68:69], 2.0, -v[2:3]
	v_fma_f64 v[70:71], v[70:71], 2.0, -v[4:5]
	s_barrier
	ds_write_b128 v67, v[68:71]
	v_add_f64 v[70:71], v[8:9], -v[10:11]
	v_add_f64 v[56:57], v[26:27], -v[56:57]
	v_add_f64 v[68:69], v[6:7], v[12:13]
	v_fma_f64 v[8:9], v[8:9], 2.0, -v[70:71]
	v_add_f64 v[64:65], v[24:25], v[64:65]
	v_fma_f64 v[12:13], v[26:27], 2.0, -v[56:57]
	v_fma_f64 v[6:7], v[6:7], 2.0, -v[68:69]
	;; [unrolled: 1-line block ×3, first 2 shown]
	v_fma_f64 v[76:77], s[0:1], v[12:13], v[8:9]
	v_add_f64 v[24:25], v[40:41], v[54:55]
	v_fma_f64 v[74:75], s[0:1], v[10:11], v[6:7]
	v_fmac_f64_e32 v[76:77], s[0:1], v[10:11]
	v_add_f64 v[26:27], v[42:43], -v[48:49]
	v_fma_f64 v[10:11], v[40:41], 2.0, -v[24:25]
	v_add_f64 v[40:41], v[44:45], v[72:73]
	v_fmac_f64_e32 v[74:75], s[2:3], v[12:13]
	v_fma_f64 v[12:13], v[42:43], 2.0, -v[26:27]
	v_add_f64 v[42:43], v[46:47], -v[62:63]
	v_fma_f64 v[44:45], v[44:45], 2.0, -v[40:41]
	v_fma_f64 v[46:47], v[46:47], 2.0, -v[42:43]
	v_fma_f64 v[48:49], s[0:1], v[44:45], v[10:11]
	v_fmac_f64_e32 v[48:49], s[2:3], v[46:47]
	v_fma_f64 v[46:47], s[0:1], v[46:47], v[12:13]
	v_fmac_f64_e32 v[46:47], s[0:1], v[44:45]
	v_fma_f64 v[44:45], v[6:7], 2.0, -v[74:75]
	v_fma_f64 v[54:55], v[8:9], 2.0, -v[76:77]
	;; [unrolled: 1-line block ×4, first 2 shown]
	v_fma_f64 v[6:7], s[10:11], v[10:11], v[44:45]
	v_fma_f64 v[8:9], s[10:11], v[12:13], v[54:55]
	v_fmac_f64_e32 v[6:7], s[6:7], v[12:13]
	v_fmac_f64_e32 v[8:9], s[8:9], v[10:11]
	v_fma_f64 v[10:11], v[44:45], 2.0, -v[6:7]
	v_fma_f64 v[12:13], v[54:55], 2.0, -v[8:9]
	v_add_f64 v[44:45], v[18:19], v[28:29]
	v_add_f64 v[54:55], v[20:21], -v[22:23]
	v_add_f64 v[58:59], v[30:31], v[58:59]
	v_add_f64 v[50:51], v[32:33], -v[50:51]
	v_fma_f64 v[62:63], s[2:3], v[64:65], v[68:69]
	v_fma_f64 v[18:19], v[18:19], 2.0, -v[44:45]
	v_fma_f64 v[20:21], v[20:21], 2.0, -v[54:55]
	;; [unrolled: 1-line block ×4, first 2 shown]
	v_fmac_f64_e32 v[62:63], s[2:3], v[56:57]
	v_fma_f64 v[56:57], s[2:3], v[56:57], v[70:71]
	ds_write_b128 v67, v[10:13] offset:16
	v_fma_f64 v[10:11], s[0:1], v[22:23], v[18:19]
	v_fma_f64 v[12:13], s[0:1], v[28:29], v[20:21]
	v_fmac_f64_e32 v[56:57], s[0:1], v[64:65]
	v_fma_f64 v[64:65], s[2:3], v[40:41], v[24:25]
	v_fma_f64 v[72:73], s[2:3], v[42:43], v[26:27]
	v_fmac_f64_e32 v[10:11], s[2:3], v[28:29]
	v_fmac_f64_e32 v[12:13], s[0:1], v[22:23]
	v_fmac_f64_e32 v[64:65], s[2:3], v[42:43]
	v_fmac_f64_e32 v[72:73], s[0:1], v[40:41]
	v_fma_f64 v[18:19], v[18:19], 2.0, -v[10:11]
	v_fma_f64 v[20:21], v[20:21], 2.0, -v[12:13]
	;; [unrolled: 1-line block ×6, first 2 shown]
	ds_write_b128 v67, v[18:21] offset:32
	v_fma_f64 v[18:19], s[8:9], v[24:25], v[22:23]
	v_fma_f64 v[20:21], s[8:9], v[26:27], v[28:29]
	v_fmac_f64_e32 v[18:19], s[12:13], v[26:27]
	v_fmac_f64_e32 v[20:21], s[10:11], v[24:25]
	v_fma_f64 v[22:23], v[22:23], 2.0, -v[18:19]
	v_fma_f64 v[24:25], v[28:29], 2.0, -v[20:21]
	v_fma_f64 v[28:29], s[6:7], v[46:47], v[76:77]
	v_fma_f64 v[40:41], s[2:3], v[58:59], v[44:45]
	ds_write_b128 v67, v[22:25] offset:48
	v_add_f64 v[22:23], v[14:15], v[60:61]
	v_add_f64 v[24:25], v[16:17], -v[52:53]
	v_fma_f64 v[26:27], s[6:7], v[48:49], v[74:75]
	v_fmac_f64_e32 v[28:29], s[10:11], v[48:49]
	v_fma_f64 v[42:43], s[2:3], v[50:51], v[54:55]
	v_fmac_f64_e32 v[40:41], s[2:3], v[50:51]
	v_fma_f64 v[48:49], s[12:13], v[64:65], v[62:63]
	v_fma_f64 v[50:51], s[12:13], v[72:73], v[56:57]
	v_fma_f64 v[14:15], v[14:15], 2.0, -v[22:23]
	v_fma_f64 v[16:17], v[16:17], 2.0, -v[24:25]
	v_fmac_f64_e32 v[26:27], s[12:13], v[46:47]
	v_fmac_f64_e32 v[42:43], s[0:1], v[58:59]
	;; [unrolled: 1-line block ×4, first 2 shown]
	v_fma_f64 v[30:31], v[74:75], 2.0, -v[26:27]
	v_fma_f64 v[32:33], v[76:77], 2.0, -v[28:29]
	;; [unrolled: 1-line block ×6, first 2 shown]
	ds_write_b128 v67, v[14:17] offset:64
	ds_write_b128 v67, v[30:33] offset:80
	;; [unrolled: 1-line block ×12, first 2 shown]
	v_and_b32_e32 v2, 15, v0
	v_mul_u32_u24_e32 v2, 15, v2
	v_lshlrev_b32_e32 v67, 4, v2
	s_waitcnt lgkmcnt(0)
	s_barrier
	global_load_dwordx4 v[14:17], v67, s[4:5]
	global_load_dwordx4 v[10:13], v67, s[4:5] offset:16
	global_load_dwordx4 v[6:9], v67, s[4:5] offset:32
	;; [unrolled: 1-line block ×11, first 2 shown]
	ds_read_b128 v[56:59], v37 offset:4096
	ds_read_b128 v[60:63], v37
	ds_read_b128 v[68:71], v37 offset:8192
	v_bitop3_b32 v0, v1, s14, v0 bitop3:0xc8
	s_waitcnt vmcnt(11) lgkmcnt(2)
	v_mul_f64 v[64:65], v[58:59], v[16:17]
	v_mul_f64 v[16:17], v[56:57], v[16:17]
	v_fmac_f64_e32 v[64:65], v[56:57], v[14:15]
	v_fma_f64 v[56:57], v[58:59], v[14:15], -v[16:17]
	ds_read_b128 v[14:17], v37 offset:12288
	s_waitcnt vmcnt(10) lgkmcnt(1)
	v_mul_f64 v[58:59], v[70:71], v[12:13]
	v_mul_f64 v[12:13], v[68:69], v[12:13]
	v_fmac_f64_e32 v[58:59], v[68:69], v[10:11]
	v_fma_f64 v[68:69], v[70:71], v[10:11], -v[12:13]
	ds_read_b128 v[10:13], v37 offset:16384
	s_waitcnt vmcnt(9) lgkmcnt(1)
	v_mul_f64 v[70:71], v[16:17], v[8:9]
	v_mul_f64 v[8:9], v[14:15], v[8:9]
	v_fmac_f64_e32 v[70:71], v[14:15], v[6:7]
	v_fma_f64 v[14:15], v[16:17], v[6:7], -v[8:9]
	ds_read_b128 v[6:9], v37 offset:20480
	s_waitcnt vmcnt(8) lgkmcnt(1)
	v_mul_f64 v[16:17], v[12:13], v[4:5]
	v_mul_f64 v[4:5], v[10:11], v[4:5]
	v_fmac_f64_e32 v[16:17], v[10:11], v[2:3]
	v_fma_f64 v[72:73], v[12:13], v[2:3], -v[4:5]
	ds_read_b128 v[2:5], v37 offset:24576
	s_waitcnt vmcnt(7) lgkmcnt(1)
	v_mul_f64 v[74:75], v[8:9], v[32:33]
	v_fmac_f64_e32 v[74:75], v[6:7], v[30:31]
	v_mul_f64 v[6:7], v[6:7], v[32:33]
	v_fma_f64 v[30:31], v[8:9], v[30:31], -v[6:7]
	ds_read_b128 v[6:9], v37 offset:28672
	s_waitcnt vmcnt(6) lgkmcnt(1)
	v_mul_f64 v[32:33], v[4:5], v[28:29]
	v_fmac_f64_e32 v[32:33], v[2:3], v[26:27]
	v_mul_f64 v[2:3], v[2:3], v[28:29]
	v_fma_f64 v[26:27], v[4:5], v[26:27], -v[2:3]
	ds_read_b128 v[2:5], v37 offset:32768
	;; [unrolled: 6-line block ×7, first 2 shown]
	s_waitcnt vmcnt(0) lgkmcnt(1)
	v_mul_f64 v[50:51], v[4:5], v[54:55]
	v_fmac_f64_e32 v[50:51], v[2:3], v[52:53]
	v_mul_f64 v[2:3], v[2:3], v[54:55]
	v_fma_f64 v[52:53], v[4:5], v[52:53], -v[2:3]
	global_load_dwordx4 v[2:5], v67, s[4:5] offset:192
	global_load_dwordx4 v[10:13], v67, s[4:5] offset:208
	v_add_f64 v[18:19], v[62:63], -v[18:19]
	v_add_f64 v[24:25], v[60:61], -v[24:25]
	;; [unrolled: 1-line block ×7, first 2 shown]
	v_fma_f64 v[58:59], v[58:59], 2.0, -v[42:43]
	v_add_f64 v[46:47], v[70:71], -v[46:47]
	v_add_f64 v[48:49], v[14:15], -v[48:49]
	v_fma_f64 v[70:71], v[70:71], 2.0, -v[46:47]
	v_fma_f64 v[14:15], v[14:15], 2.0, -v[48:49]
	s_waitcnt vmcnt(1) lgkmcnt(0)
	v_mul_f64 v[54:55], v[8:9], v[4:5]
	v_mul_f64 v[4:5], v[6:7], v[4:5]
	v_fmac_f64_e32 v[54:55], v[6:7], v[2:3]
	v_fma_f64 v[76:77], v[8:9], v[2:3], -v[4:5]
	ds_read_b128 v[2:5], v37 offset:57344
	ds_read_b128 v[6:9], v37 offset:61440
	v_add_f64 v[54:55], v[74:75], -v[54:55]
	s_waitcnt vmcnt(0) lgkmcnt(1)
	v_mul_f64 v[78:79], v[4:5], v[12:13]
	v_fmac_f64_e32 v[78:79], v[2:3], v[10:11]
	v_mul_f64 v[2:3], v[2:3], v[12:13]
	v_fma_f64 v[10:11], v[4:5], v[10:11], -v[2:3]
	global_load_dwordx4 v[2:5], v67, s[4:5] offset:224
	v_lshl_add_u32 v67, v0, 4, 0
	v_add_f64 v[0:1], v[24:25], v[52:53]
	s_waitcnt lgkmcnt(0)
	s_barrier
	s_waitcnt vmcnt(0)
	v_mul_f64 v[12:13], v[8:9], v[4:5]
	v_fmac_f64_e32 v[12:13], v[6:7], v[2:3]
	v_mul_f64 v[4:5], v[6:7], v[4:5]
	v_fma_f64 v[6:7], v[62:63], 2.0, -v[18:19]
	v_add_f64 v[62:63], v[32:33], -v[78:79]
	v_fma_f64 v[2:3], v[8:9], v[2:3], -v[4:5]
	v_fma_f64 v[4:5], v[60:61], 2.0, -v[24:25]
	v_fma_f64 v[8:9], v[16:17], 2.0, -v[50:51]
	;; [unrolled: 1-line block ×4, first 2 shown]
	v_add_f64 v[68:69], v[26:27], -v[10:11]
	v_fma_f64 v[10:11], v[32:33], 2.0, -v[62:63]
	v_add_f64 v[32:33], v[56:57], -v[40:41]
	v_fma_f64 v[40:41], v[64:65], 2.0, -v[20:21]
	;; [unrolled: 2-line block ×4, first 2 shown]
	v_fma_f64 v[56:57], v[56:57], 2.0, -v[32:33]
	v_fma_f64 v[30:31], v[30:31], 2.0, -v[64:65]
	v_add_f64 v[76:77], v[22:23], -v[2:3]
	v_fma_f64 v[2:3], v[28:29], 2.0, -v[74:75]
	v_add_f64 v[28:29], v[6:7], -v[16:17]
	v_add_f64 v[78:79], v[58:59], -v[10:11]
	v_fma_f64 v[12:13], v[22:23], 2.0, -v[76:77]
	v_fma_f64 v[16:17], v[6:7], 2.0, -v[28:29]
	v_add_f64 v[26:27], v[60:61], -v[26:27]
	v_fma_f64 v[6:7], v[58:59], 2.0, -v[78:79]
	v_add_f64 v[58:59], v[40:41], -v[72:73]
	v_add_f64 v[30:31], v[56:57], -v[30:31]
	;; [unrolled: 1-line block ×3, first 2 shown]
	v_fma_f64 v[8:9], v[60:61], 2.0, -v[26:27]
	v_fma_f64 v[10:11], v[40:41], 2.0, -v[58:59]
	;; [unrolled: 1-line block ×3, first 2 shown]
	v_add_f64 v[56:57], v[70:71], -v[2:3]
	v_add_f64 v[60:61], v[14:15], -v[12:13]
	v_fma_f64 v[4:5], v[4:5], 2.0, -v[22:23]
	v_fma_f64 v[2:3], v[70:71], 2.0, -v[56:57]
	;; [unrolled: 1-line block ×3, first 2 shown]
	v_add_f64 v[6:7], v[4:5], -v[6:7]
	v_add_f64 v[8:9], v[16:17], -v[8:9]
	;; [unrolled: 1-line block ×4, first 2 shown]
	v_fma_f64 v[14:15], v[4:5], 2.0, -v[6:7]
	v_fma_f64 v[16:17], v[16:17], 2.0, -v[8:9]
	;; [unrolled: 1-line block ×4, first 2 shown]
	v_add_f64 v[2:3], v[14:15], -v[2:3]
	v_add_f64 v[4:5], v[16:17], -v[4:5]
	v_fma_f64 v[10:11], v[14:15], 2.0, -v[2:3]
	v_fma_f64 v[12:13], v[16:17], 2.0, -v[4:5]
	ds_write_b128 v67, v[10:13]
	v_fma_f64 v[10:11], v[24:25], 2.0, -v[0:1]
	v_add_f64 v[24:25], v[42:43], v[68:69]
	v_add_f64 v[40:41], v[18:19], -v[50:51]
	v_add_f64 v[50:51], v[44:45], -v[62:63]
	v_fma_f64 v[14:15], v[42:43], 2.0, -v[24:25]
	v_fma_f64 v[12:13], v[18:19], 2.0, -v[40:41]
	;; [unrolled: 1-line block ×3, first 2 shown]
	v_fma_f64 v[42:43], s[0:1], v[14:15], v[10:11]
	v_add_f64 v[54:55], v[32:33], -v[54:55]
	v_fmac_f64_e32 v[42:43], s[2:3], v[16:17]
	v_fma_f64 v[44:45], s[0:1], v[16:17], v[12:13]
	v_add_f64 v[52:53], v[20:21], v[64:65]
	v_fma_f64 v[16:17], v[32:33], 2.0, -v[54:55]
	v_add_f64 v[32:33], v[46:47], v[76:77]
	v_add_f64 v[62:63], v[48:49], -v[74:75]
	v_fmac_f64_e32 v[44:45], s[0:1], v[14:15]
	v_fma_f64 v[14:15], v[20:21], 2.0, -v[52:53]
	v_fma_f64 v[18:19], v[46:47], 2.0, -v[32:33]
	;; [unrolled: 1-line block ×3, first 2 shown]
	v_fma_f64 v[46:47], s[0:1], v[18:19], v[14:15]
	v_fma_f64 v[48:49], s[0:1], v[20:21], v[16:17]
	v_fmac_f64_e32 v[46:47], s[2:3], v[20:21]
	v_fmac_f64_e32 v[48:49], s[0:1], v[18:19]
	v_fma_f64 v[18:19], v[10:11], 2.0, -v[42:43]
	v_fma_f64 v[20:21], v[12:13], 2.0, -v[44:45]
	;; [unrolled: 1-line block ×4, first 2 shown]
	v_fma_f64 v[10:11], s[10:11], v[14:15], v[18:19]
	v_fma_f64 v[12:13], s[10:11], v[16:17], v[20:21]
	v_fmac_f64_e32 v[10:11], s[6:7], v[16:17]
	v_fmac_f64_e32 v[12:13], s[8:9], v[14:15]
	v_add_f64 v[64:65], v[22:23], v[26:27]
	v_add_f64 v[68:69], v[28:29], -v[78:79]
	v_add_f64 v[60:61], v[58:59], v[60:61]
	v_add_f64 v[56:57], v[30:31], -v[56:57]
	v_fma_f64 v[14:15], v[18:19], 2.0, -v[10:11]
	v_fma_f64 v[16:17], v[20:21], 2.0, -v[12:13]
	;; [unrolled: 1-line block ×6, first 2 shown]
	v_fma_f64 v[76:77], s[2:3], v[32:33], v[52:53]
	ds_write_b128 v67, v[14:17] offset:256
	v_fma_f64 v[14:15], s[0:1], v[22:23], v[18:19]
	v_fma_f64 v[16:17], s[0:1], v[26:27], v[20:21]
	;; [unrolled: 1-line block ×4, first 2 shown]
	v_fmac_f64_e32 v[76:77], s[2:3], v[62:63]
	v_fma_f64 v[62:63], s[2:3], v[62:63], v[54:55]
	v_fmac_f64_e32 v[14:15], s[2:3], v[26:27]
	v_fmac_f64_e32 v[16:17], s[0:1], v[22:23]
	;; [unrolled: 1-line block ×5, first 2 shown]
	v_fma_f64 v[18:19], v[18:19], 2.0, -v[14:15]
	v_fma_f64 v[20:21], v[20:21], 2.0, -v[16:17]
	;; [unrolled: 1-line block ×6, first 2 shown]
	v_fma_f64 v[30:31], s[6:7], v[46:47], v[42:43]
	v_fma_f64 v[32:33], s[6:7], v[48:49], v[44:45]
	ds_write_b128 v67, v[18:21] offset:512
	v_fma_f64 v[18:19], s[8:9], v[22:23], v[0:1]
	v_fma_f64 v[20:21], s[8:9], v[26:27], v[24:25]
	v_fmac_f64_e32 v[30:31], s[12:13], v[48:49]
	v_fmac_f64_e32 v[32:33], s[10:11], v[46:47]
	;; [unrolled: 1-line block ×4, first 2 shown]
	v_fma_f64 v[40:41], v[42:43], 2.0, -v[30:31]
	v_fma_f64 v[42:43], v[44:45], 2.0, -v[32:33]
	v_fma_f64 v[44:45], s[2:3], v[60:61], v[64:65]
	v_fma_f64 v[46:47], s[2:3], v[56:57], v[68:69]
	;; [unrolled: 1-line block ×4, first 2 shown]
	v_fma_f64 v[22:23], v[0:1], 2.0, -v[18:19]
	v_fma_f64 v[24:25], v[24:25], 2.0, -v[20:21]
	v_add_f64 v[26:27], v[6:7], v[72:73]
	v_add_f64 v[28:29], v[8:9], -v[70:71]
	v_fmac_f64_e32 v[44:45], s[2:3], v[56:57]
	v_fmac_f64_e32 v[46:47], s[0:1], v[60:61]
	;; [unrolled: 1-line block ×4, first 2 shown]
	v_mul_u32_u24_e32 v0, 15, v38
	v_fma_f64 v[6:7], v[6:7], 2.0, -v[26:27]
	v_fma_f64 v[8:9], v[8:9], 2.0, -v[28:29]
	;; [unrolled: 1-line block ×6, first 2 shown]
	ds_write_b128 v67, v[22:25] offset:768
	ds_write_b128 v67, v[6:9] offset:1024
	ds_write_b128 v67, v[40:43] offset:1280
	ds_write_b128 v67, v[48:51] offset:1536
	ds_write_b128 v67, v[56:59] offset:1792
	ds_write_b128 v67, v[2:5] offset:2048
	ds_write_b128 v67, v[10:13] offset:2304
	ds_write_b128 v67, v[14:17] offset:2560
	ds_write_b128 v67, v[18:21] offset:2816
	ds_write_b128 v67, v[26:29] offset:3072
	ds_write_b128 v67, v[30:33] offset:3328
	ds_write_b128 v67, v[44:47] offset:3584
	ds_write_b128 v67, v[52:55] offset:3840
	v_lshlrev_b32_e32 v67, 4, v0
	s_waitcnt lgkmcnt(0)
	s_barrier
	global_load_dwordx4 v[12:15], v67, s[4:5] offset:3840
	global_load_dwordx4 v[8:11], v67, s[4:5] offset:3856
	;; [unrolled: 1-line block ×12, first 2 shown]
	ds_read_b128 v[56:59], v37 offset:4096
	ds_read_b128 v[60:63], v37
	ds_read_b128 v[68:71], v37 offset:8192
	s_waitcnt vmcnt(11) lgkmcnt(2)
	v_mul_f64 v[32:33], v[58:59], v[14:15]
	v_mul_f64 v[14:15], v[56:57], v[14:15]
	v_fmac_f64_e32 v[32:33], v[56:57], v[12:13]
	v_fma_f64 v[56:57], v[58:59], v[12:13], -v[14:15]
	ds_read_b128 v[12:15], v37 offset:12288
	s_waitcnt vmcnt(10) lgkmcnt(1)
	v_mul_f64 v[58:59], v[70:71], v[10:11]
	v_mul_f64 v[10:11], v[68:69], v[10:11]
	v_fmac_f64_e32 v[58:59], v[68:69], v[8:9]
	v_fma_f64 v[64:65], v[70:71], v[8:9], -v[10:11]
	ds_read_b128 v[8:11], v37 offset:16384
	s_waitcnt vmcnt(9) lgkmcnt(1)
	v_mul_f64 v[68:69], v[14:15], v[6:7]
	v_mul_f64 v[6:7], v[12:13], v[6:7]
	v_fmac_f64_e32 v[68:69], v[12:13], v[4:5]
	v_fma_f64 v[12:13], v[14:15], v[4:5], -v[6:7]
	ds_read_b128 v[4:7], v37 offset:20480
	s_waitcnt vmcnt(8) lgkmcnt(1)
	v_mul_f64 v[14:15], v[10:11], v[2:3]
	v_mul_f64 v[2:3], v[8:9], v[2:3]
	v_fmac_f64_e32 v[14:15], v[8:9], v[0:1]
	v_fma_f64 v[70:71], v[10:11], v[0:1], -v[2:3]
	ds_read_b128 v[0:3], v37 offset:24576
	s_waitcnt vmcnt(7) lgkmcnt(1)
	v_mul_f64 v[72:73], v[6:7], v[30:31]
	v_fmac_f64_e32 v[72:73], v[4:5], v[28:29]
	v_mul_f64 v[4:5], v[4:5], v[30:31]
	v_fma_f64 v[28:29], v[6:7], v[28:29], -v[4:5]
	ds_read_b128 v[4:7], v37 offset:28672
	s_waitcnt vmcnt(6) lgkmcnt(1)
	v_mul_f64 v[30:31], v[2:3], v[26:27]
	v_fmac_f64_e32 v[30:31], v[0:1], v[24:25]
	v_mul_f64 v[0:1], v[0:1], v[26:27]
	v_fma_f64 v[24:25], v[2:3], v[24:25], -v[0:1]
	;; [unrolled: 6-line block ×5, first 2 shown]
	ds_read_b128 v[4:7], v37 offset:45056
	s_waitcnt vmcnt(2) lgkmcnt(1)
	v_mul_f64 v[42:43], v[2:3], v[46:47]
	ds_read_b128 v[8:11], v37 offset:49152
	v_fmac_f64_e32 v[42:43], v[0:1], v[44:45]
	v_mul_f64 v[0:1], v[0:1], v[46:47]
	v_fma_f64 v[44:45], v[2:3], v[44:45], -v[0:1]
	global_load_dwordx4 v[0:3], v67, s[4:5] offset:4032
	s_waitcnt vmcnt(2) lgkmcnt(1)
	v_mul_f64 v[46:47], v[6:7], v[50:51]
	v_fmac_f64_e32 v[46:47], v[4:5], v[48:49]
	v_mul_f64 v[4:5], v[4:5], v[50:51]
	v_fma_f64 v[48:49], v[6:7], v[48:49], -v[4:5]
	ds_read_b128 v[4:7], v37 offset:53248
	s_waitcnt vmcnt(1) lgkmcnt(1)
	v_mul_f64 v[50:51], v[10:11], v[54:55]
	v_fmac_f64_e32 v[50:51], v[8:9], v[52:53]
	v_mul_f64 v[8:9], v[8:9], v[54:55]
	v_fma_f64 v[52:53], v[10:11], v[52:53], -v[8:9]
	global_load_dwordx4 v[8:11], v67, s[4:5] offset:4048
	v_add_f64 v[16:17], v[62:63], -v[16:17]
	v_add_f64 v[22:23], v[60:61], -v[22:23]
	;; [unrolled: 1-line block ×6, first 2 shown]
	v_fma_f64 v[58:59], v[58:59], 2.0, -v[42:43]
	v_add_f64 v[18:19], v[32:33], -v[18:19]
	v_add_f64 v[40:41], v[56:57], -v[40:41]
	v_add_f64 v[46:47], v[68:69], -v[46:47]
	v_add_f64 v[48:49], v[12:13], -v[48:49]
	v_fma_f64 v[32:33], v[32:33], 2.0, -v[18:19]
	v_fma_f64 v[56:57], v[56:57], 2.0, -v[40:41]
	;; [unrolled: 1-line block ×4, first 2 shown]
	s_waitcnt vmcnt(1) lgkmcnt(0)
	v_mul_f64 v[54:55], v[6:7], v[2:3]
	v_mul_f64 v[2:3], v[4:5], v[2:3]
	v_fmac_f64_e32 v[54:55], v[4:5], v[0:1]
	v_fma_f64 v[74:75], v[6:7], v[0:1], -v[2:3]
	ds_read_b128 v[0:3], v37 offset:57344
	ds_read_b128 v[4:7], v37 offset:61440
	v_add_f64 v[54:55], v[72:73], -v[54:55]
	s_waitcnt vmcnt(0) lgkmcnt(1)
	v_mul_f64 v[76:77], v[2:3], v[10:11]
	v_fmac_f64_e32 v[76:77], v[0:1], v[8:9]
	v_mul_f64 v[0:1], v[0:1], v[10:11]
	v_fma_f64 v[8:9], v[2:3], v[8:9], -v[0:1]
	global_load_dwordx4 v[0:3], v67, s[4:5] offset:4064
	v_add_f64 v[8:9], v[24:25], -v[8:9]
	v_fma_f64 v[24:25], v[24:25], 2.0, -v[8:9]
	s_waitcnt lgkmcnt(0)
	s_barrier
	s_waitcnt vmcnt(0)
	v_mul_f64 v[10:11], v[6:7], v[2:3]
	v_mul_f64 v[2:3], v[4:5], v[2:3]
	v_fmac_f64_e32 v[10:11], v[4:5], v[0:1]
	v_fma_f64 v[0:1], v[6:7], v[0:1], -v[2:3]
	v_fma_f64 v[4:5], v[62:63], 2.0, -v[16:17]
	v_add_f64 v[62:63], v[30:31], -v[76:77]
	v_fma_f64 v[2:3], v[60:61], 2.0, -v[22:23]
	v_fma_f64 v[6:7], v[14:15], 2.0, -v[50:51]
	;; [unrolled: 1-line block ×5, first 2 shown]
	v_add_f64 v[64:65], v[28:29], -v[74:75]
	v_fma_f64 v[70:71], v[72:73], 2.0, -v[54:55]
	v_add_f64 v[10:11], v[26:27], -v[10:11]
	v_add_f64 v[72:73], v[20:21], -v[0:1]
	v_fma_f64 v[28:29], v[28:29], 2.0, -v[64:65]
	v_fma_f64 v[0:1], v[26:27], 2.0, -v[10:11]
	;; [unrolled: 1-line block ×3, first 2 shown]
	v_add_f64 v[30:31], v[58:59], -v[30:31]
	v_add_f64 v[24:25], v[60:61], -v[24:25]
	;; [unrolled: 1-line block ×4, first 2 shown]
	v_fma_f64 v[6:7], v[58:59], 2.0, -v[30:31]
	v_fma_f64 v[58:59], v[60:61], 2.0, -v[24:25]
	v_add_f64 v[60:61], v[32:33], -v[70:71]
	v_add_f64 v[28:29], v[56:57], -v[28:29]
	;; [unrolled: 1-line block ×4, first 2 shown]
	v_fma_f64 v[2:3], v[2:3], 2.0, -v[26:27]
	v_fma_f64 v[4:5], v[4:5], 2.0, -v[14:15]
	;; [unrolled: 1-line block ×6, first 2 shown]
	v_add_f64 v[68:69], v[2:3], -v[6:7]
	v_add_f64 v[58:59], v[4:5], -v[58:59]
	;; [unrolled: 1-line block ×4, first 2 shown]
	v_fma_f64 v[6:7], v[2:3], 2.0, -v[68:69]
	v_fma_f64 v[74:75], v[4:5], 2.0, -v[58:59]
	;; [unrolled: 1-line block ×4, first 2 shown]
	v_add_f64 v[0:1], v[6:7], -v[0:1]
	v_add_f64 v[2:3], v[74:75], -v[2:3]
	v_fma_f64 v[4:5], v[6:7], 2.0, -v[0:1]
	v_fma_f64 v[6:7], v[74:75], 2.0, -v[2:3]
	v_add_f64 v[32:33], v[22:23], v[52:53]
	ds_write_b128 v37, v[4:7]
	v_add_f64 v[50:51], v[16:17], -v[50:51]
	v_fma_f64 v[4:5], v[22:23], 2.0, -v[32:33]
	v_add_f64 v[22:23], v[44:45], -v[62:63]
	v_fma_f64 v[6:7], v[16:17], 2.0, -v[50:51]
	v_add_f64 v[16:17], v[42:43], v[8:9]
	v_fma_f64 v[12:13], v[44:45], 2.0, -v[22:23]
	v_fma_f64 v[8:9], v[42:43], 2.0, -v[16:17]
	v_fma_f64 v[44:45], s[0:1], v[12:13], v[6:7]
	v_add_f64 v[52:53], v[18:19], v[64:65]
	v_fma_f64 v[42:43], s[0:1], v[8:9], v[4:5]
	v_fmac_f64_e32 v[44:45], s[0:1], v[8:9]
	v_add_f64 v[54:55], v[40:41], -v[54:55]
	v_fma_f64 v[8:9], v[18:19], 2.0, -v[52:53]
	v_add_f64 v[18:19], v[46:47], v[72:73]
	v_fmac_f64_e32 v[42:43], s[2:3], v[12:13]
	v_fma_f64 v[12:13], v[40:41], 2.0, -v[54:55]
	v_add_f64 v[40:41], v[48:49], -v[10:11]
	v_fma_f64 v[10:11], v[46:47], 2.0, -v[18:19]
	v_fma_f64 v[46:47], v[48:49], 2.0, -v[40:41]
	v_fma_f64 v[48:49], s[0:1], v[10:11], v[8:9]
	v_fmac_f64_e32 v[48:49], s[2:3], v[46:47]
	v_fma_f64 v[46:47], s[0:1], v[46:47], v[12:13]
	v_fmac_f64_e32 v[46:47], s[0:1], v[10:11]
	v_fma_f64 v[10:11], v[4:5], 2.0, -v[42:43]
	v_fma_f64 v[56:57], v[6:7], 2.0, -v[44:45]
	;; [unrolled: 1-line block ×4, first 2 shown]
	v_fma_f64 v[4:5], s[10:11], v[8:9], v[10:11]
	v_fma_f64 v[6:7], s[10:11], v[12:13], v[56:57]
	v_fmac_f64_e32 v[4:5], s[6:7], v[12:13]
	v_fmac_f64_e32 v[6:7], s[8:9], v[8:9]
	v_fma_f64 v[8:9], v[10:11], 2.0, -v[4:5]
	v_fma_f64 v[10:11], v[56:57], 2.0, -v[6:7]
	v_add_f64 v[56:57], v[26:27], v[24:25]
	v_add_f64 v[62:63], v[14:15], -v[30:31]
	v_add_f64 v[64:65], v[60:61], v[20:21]
	v_add_f64 v[70:71], v[28:29], -v[70:71]
	v_fma_f64 v[12:13], v[26:27], 2.0, -v[56:57]
	v_fma_f64 v[14:15], v[14:15], 2.0, -v[62:63]
	;; [unrolled: 1-line block ×4, first 2 shown]
	ds_write_b128 v37, v[8:11] offset:4096
	v_fma_f64 v[8:9], s[0:1], v[20:21], v[12:13]
	v_fma_f64 v[10:11], s[0:1], v[24:25], v[14:15]
	;; [unrolled: 1-line block ×6, first 2 shown]
	v_fmac_f64_e32 v[8:9], s[2:3], v[24:25]
	v_fmac_f64_e32 v[10:11], s[0:1], v[20:21]
	;; [unrolled: 1-line block ×6, first 2 shown]
	v_fma_f64 v[12:13], v[12:13], 2.0, -v[8:9]
	v_fma_f64 v[14:15], v[14:15], 2.0, -v[10:11]
	;; [unrolled: 1-line block ×6, first 2 shown]
	v_fma_f64 v[28:29], s[6:7], v[48:49], v[42:43]
	v_fma_f64 v[30:31], s[6:7], v[46:47], v[44:45]
	ds_write_b128 v37, v[12:15] offset:8192
	v_fma_f64 v[12:13], s[8:9], v[20:21], v[16:17]
	v_fma_f64 v[14:15], s[8:9], v[22:23], v[18:19]
	v_fmac_f64_e32 v[28:29], s[12:13], v[46:47]
	v_fmac_f64_e32 v[30:31], s[10:11], v[48:49]
	;; [unrolled: 1-line block ×4, first 2 shown]
	v_fma_f64 v[40:41], v[42:43], 2.0, -v[28:29]
	v_fma_f64 v[42:43], v[44:45], 2.0, -v[30:31]
	v_fma_f64 v[44:45], s[2:3], v[64:65], v[56:57]
	v_fma_f64 v[46:47], s[2:3], v[70:71], v[62:63]
	;; [unrolled: 1-line block ×4, first 2 shown]
	v_fma_f64 v[16:17], v[16:17], 2.0, -v[12:13]
	v_fma_f64 v[18:19], v[18:19], 2.0, -v[14:15]
	v_add_f64 v[20:21], v[68:69], v[78:79]
	v_add_f64 v[22:23], v[58:59], -v[76:77]
	v_fmac_f64_e32 v[44:45], s[2:3], v[70:71]
	v_fmac_f64_e32 v[46:47], s[0:1], v[64:65]
	;; [unrolled: 1-line block ×4, first 2 shown]
	v_fma_f64 v[24:25], v[68:69], 2.0, -v[20:21]
	v_fma_f64 v[26:27], v[58:59], 2.0, -v[22:23]
	v_fma_f64 v[48:49], v[56:57], 2.0, -v[44:45]
	v_fma_f64 v[50:51], v[62:63], 2.0, -v[46:47]
	v_fma_f64 v[56:57], v[60:61], 2.0, -v[52:53]
	v_fma_f64 v[58:59], v[72:73], 2.0, -v[54:55]
	ds_write_b128 v39, v[16:19]
	ds_write_b128 v37, v[24:27] offset:16384
	ds_write_b128 v37, v[40:43] offset:20480
	;; [unrolled: 1-line block ×3, first 2 shown]
	ds_write_b128 v66, v[56:59]
	ds_write_b128 v37, v[0:3] offset:32768
	ds_write_b128 v37, v[4:7] offset:36864
	;; [unrolled: 1-line block ×3, first 2 shown]
	v_add_u32_e32 v0, 0, v36
	ds_write_b128 v0, v[12:15] offset:45056
	ds_write_b128 v37, v[20:23] offset:49152
	;; [unrolled: 1-line block ×5, first 2 shown]
	s_waitcnt lgkmcnt(0)
	s_barrier
	s_and_saveexec_b64 s[0:1], vcc
	s_cbranch_execz .LBB0_19
; %bb.18:
	v_lshl_add_u32 v12, v38, 4, 0
	ds_read_b128 v[0:3], v12
	ds_read_b128 v[4:7], v12 offset:4096
	v_mov_b32_e32 v39, 0
	v_add_u32_e32 v8, 0x100, v38
	v_lshl_add_u64 v[10:11], v[38:39], 4, v[34:35]
	v_mov_b32_e32 v9, v39
	s_waitcnt lgkmcnt(1)
	global_store_dwordx4 v[10:11], v[0:3], off
	s_nop 1
	v_lshl_add_u64 v[0:1], v[8:9], 4, v[34:35]
	s_waitcnt lgkmcnt(0)
	global_store_dwordx4 v[0:1], v[4:7], off
	ds_read_b128 v[0:3], v12 offset:8192
	s_nop 0
	v_add_u32_e32 v4, 0x200, v38
	v_mov_b32_e32 v5, v39
	v_lshl_add_u64 v[8:9], v[4:5], 4, v[34:35]
	ds_read_b128 v[4:7], v12 offset:12288
	s_waitcnt lgkmcnt(1)
	global_store_dwordx4 v[8:9], v[0:3], off
	s_nop 1
	v_add_u32_e32 v0, 0x300, v38
	v_mov_b32_e32 v1, v39
	v_lshl_add_u64 v[0:1], v[0:1], 4, v[34:35]
	s_waitcnt lgkmcnt(0)
	global_store_dwordx4 v[0:1], v[4:7], off
	ds_read_b128 v[0:3], v12 offset:16384
	s_nop 0
	v_add_u32_e32 v4, 0x400, v38
	v_mov_b32_e32 v5, v39
	v_lshl_add_u64 v[8:9], v[4:5], 4, v[34:35]
	ds_read_b128 v[4:7], v12 offset:20480
	s_waitcnt lgkmcnt(1)
	global_store_dwordx4 v[8:9], v[0:3], off
	s_nop 1
	v_add_u32_e32 v0, 0x500, v38
	v_mov_b32_e32 v1, v39
	v_lshl_add_u64 v[0:1], v[0:1], 4, v[34:35]
	s_waitcnt lgkmcnt(0)
	global_store_dwordx4 v[0:1], v[4:7], off
	ds_read_b128 v[0:3], v12 offset:24576
	s_nop 0
	v_add_u32_e32 v4, 0x600, v38
	v_mov_b32_e32 v5, v39
	v_lshl_add_u64 v[8:9], v[4:5], 4, v[34:35]
	ds_read_b128 v[4:7], v12 offset:28672
	s_waitcnt lgkmcnt(1)
	global_store_dwordx4 v[8:9], v[0:3], off
	s_nop 1
	v_add_u32_e32 v0, 0x700, v38
	v_mov_b32_e32 v1, v39
	v_lshl_add_u64 v[0:1], v[0:1], 4, v[34:35]
	s_waitcnt lgkmcnt(0)
	global_store_dwordx4 v[0:1], v[4:7], off
	ds_read_b128 v[0:3], v12 offset:32768
	s_nop 0
	v_add_u32_e32 v4, 0x800, v38
	v_mov_b32_e32 v5, v39
	v_lshl_add_u64 v[8:9], v[4:5], 4, v[34:35]
	ds_read_b128 v[4:7], v12 offset:36864
	s_waitcnt lgkmcnt(1)
	global_store_dwordx4 v[8:9], v[0:3], off
	s_nop 1
	v_add_u32_e32 v0, 0x900, v38
	v_mov_b32_e32 v1, v39
	v_lshl_add_u64 v[0:1], v[0:1], 4, v[34:35]
	s_waitcnt lgkmcnt(0)
	global_store_dwordx4 v[0:1], v[4:7], off
	ds_read_b128 v[0:3], v12 offset:40960
	s_nop 0
	v_add_u32_e32 v4, 0xa00, v38
	v_mov_b32_e32 v5, v39
	v_lshl_add_u64 v[8:9], v[4:5], 4, v[34:35]
	ds_read_b128 v[4:7], v12 offset:45056
	s_waitcnt lgkmcnt(1)
	global_store_dwordx4 v[8:9], v[0:3], off
	s_nop 1
	v_add_u32_e32 v0, 0xb00, v38
	v_mov_b32_e32 v1, v39
	v_lshl_add_u64 v[0:1], v[0:1], 4, v[34:35]
	s_waitcnt lgkmcnt(0)
	global_store_dwordx4 v[0:1], v[4:7], off
	ds_read_b128 v[0:3], v12 offset:49152
	s_nop 0
	v_add_u32_e32 v4, 0xc00, v38
	v_mov_b32_e32 v5, v39
	v_lshl_add_u64 v[8:9], v[4:5], 4, v[34:35]
	ds_read_b128 v[4:7], v12 offset:53248
	s_waitcnt lgkmcnt(1)
	global_store_dwordx4 v[8:9], v[0:3], off
	v_add_u32_e32 v8, 0xe00, v38
	v_mov_b32_e32 v9, v39
	v_add_u32_e32 v0, 0xd00, v38
	v_mov_b32_e32 v1, v39
	v_lshl_add_u64 v[0:1], v[0:1], 4, v[34:35]
	s_waitcnt lgkmcnt(0)
	global_store_dwordx4 v[0:1], v[4:7], off
	ds_read_b128 v[0:3], v12 offset:57344
	ds_read_b128 v[4:7], v12 offset:61440
	v_lshl_add_u64 v[8:9], v[8:9], 4, v[34:35]
	v_add_u32_e32 v38, 0xf00, v38
	s_waitcnt lgkmcnt(1)
	global_store_dwordx4 v[8:9], v[0:3], off
	s_nop 1
	v_lshl_add_u64 v[0:1], v[38:39], 4, v[34:35]
	s_waitcnt lgkmcnt(0)
	global_store_dwordx4 v[0:1], v[4:7], off
.LBB0_19:
	s_endpgm
	.section	.rodata,"a",@progbits
	.p2align	6, 0x0
	.amdhsa_kernel fft_rtc_back_len4096_factors_16_16_16_wgs_256_tpt_256_halfLds_dp_ip_CI_unitstride_sbrr_C2R_dirReg
		.amdhsa_group_segment_fixed_size 0
		.amdhsa_private_segment_fixed_size 0
		.amdhsa_kernarg_size 88
		.amdhsa_user_sgpr_count 2
		.amdhsa_user_sgpr_dispatch_ptr 0
		.amdhsa_user_sgpr_queue_ptr 0
		.amdhsa_user_sgpr_kernarg_segment_ptr 1
		.amdhsa_user_sgpr_dispatch_id 0
		.amdhsa_user_sgpr_kernarg_preload_length 0
		.amdhsa_user_sgpr_kernarg_preload_offset 0
		.amdhsa_user_sgpr_private_segment_size 0
		.amdhsa_uses_dynamic_stack 0
		.amdhsa_enable_private_segment 0
		.amdhsa_system_sgpr_workgroup_id_x 1
		.amdhsa_system_sgpr_workgroup_id_y 0
		.amdhsa_system_sgpr_workgroup_id_z 0
		.amdhsa_system_sgpr_workgroup_info 0
		.amdhsa_system_vgpr_workitem_id 0
		.amdhsa_next_free_vgpr 99
		.amdhsa_next_free_sgpr 22
		.amdhsa_accum_offset 100
		.amdhsa_reserve_vcc 1
		.amdhsa_float_round_mode_32 0
		.amdhsa_float_round_mode_16_64 0
		.amdhsa_float_denorm_mode_32 3
		.amdhsa_float_denorm_mode_16_64 3
		.amdhsa_dx10_clamp 1
		.amdhsa_ieee_mode 1
		.amdhsa_fp16_overflow 0
		.amdhsa_tg_split 0
		.amdhsa_exception_fp_ieee_invalid_op 0
		.amdhsa_exception_fp_denorm_src 0
		.amdhsa_exception_fp_ieee_div_zero 0
		.amdhsa_exception_fp_ieee_overflow 0
		.amdhsa_exception_fp_ieee_underflow 0
		.amdhsa_exception_fp_ieee_inexact 0
		.amdhsa_exception_int_div_zero 0
	.end_amdhsa_kernel
	.text
.Lfunc_end0:
	.size	fft_rtc_back_len4096_factors_16_16_16_wgs_256_tpt_256_halfLds_dp_ip_CI_unitstride_sbrr_C2R_dirReg, .Lfunc_end0-fft_rtc_back_len4096_factors_16_16_16_wgs_256_tpt_256_halfLds_dp_ip_CI_unitstride_sbrr_C2R_dirReg
                                        ; -- End function
	.section	.AMDGPU.csdata,"",@progbits
; Kernel info:
; codeLenInByte = 9332
; NumSgprs: 28
; NumVgprs: 99
; NumAgprs: 0
; TotalNumVgprs: 99
; ScratchSize: 0
; MemoryBound: 0
; FloatMode: 240
; IeeeMode: 1
; LDSByteSize: 0 bytes/workgroup (compile time only)
; SGPRBlocks: 3
; VGPRBlocks: 12
; NumSGPRsForWavesPerEU: 28
; NumVGPRsForWavesPerEU: 99
; AccumOffset: 100
; Occupancy: 4
; WaveLimiterHint : 1
; COMPUTE_PGM_RSRC2:SCRATCH_EN: 0
; COMPUTE_PGM_RSRC2:USER_SGPR: 2
; COMPUTE_PGM_RSRC2:TRAP_HANDLER: 0
; COMPUTE_PGM_RSRC2:TGID_X_EN: 1
; COMPUTE_PGM_RSRC2:TGID_Y_EN: 0
; COMPUTE_PGM_RSRC2:TGID_Z_EN: 0
; COMPUTE_PGM_RSRC2:TIDIG_COMP_CNT: 0
; COMPUTE_PGM_RSRC3_GFX90A:ACCUM_OFFSET: 24
; COMPUTE_PGM_RSRC3_GFX90A:TG_SPLIT: 0
	.text
	.p2alignl 6, 3212836864
	.fill 256, 4, 3212836864
	.type	__hip_cuid_b6f64c3e42825a3c,@object ; @__hip_cuid_b6f64c3e42825a3c
	.section	.bss,"aw",@nobits
	.globl	__hip_cuid_b6f64c3e42825a3c
__hip_cuid_b6f64c3e42825a3c:
	.byte	0                               ; 0x0
	.size	__hip_cuid_b6f64c3e42825a3c, 1

	.ident	"AMD clang version 19.0.0git (https://github.com/RadeonOpenCompute/llvm-project roc-6.4.0 25133 c7fe45cf4b819c5991fe208aaa96edf142730f1d)"
	.section	".note.GNU-stack","",@progbits
	.addrsig
	.addrsig_sym __hip_cuid_b6f64c3e42825a3c
	.amdgpu_metadata
---
amdhsa.kernels:
  - .agpr_count:     0
    .args:
      - .actual_access:  read_only
        .address_space:  global
        .offset:         0
        .size:           8
        .value_kind:     global_buffer
      - .offset:         8
        .size:           8
        .value_kind:     by_value
      - .actual_access:  read_only
        .address_space:  global
        .offset:         16
        .size:           8
        .value_kind:     global_buffer
      - .actual_access:  read_only
        .address_space:  global
        .offset:         24
        .size:           8
        .value_kind:     global_buffer
      - .offset:         32
        .size:           8
        .value_kind:     by_value
      - .actual_access:  read_only
        .address_space:  global
        .offset:         40
        .size:           8
        .value_kind:     global_buffer
      - .actual_access:  read_only
        .address_space:  global
        .offset:         48
        .size:           8
        .value_kind:     global_buffer
      - .offset:         56
        .size:           4
        .value_kind:     by_value
      - .actual_access:  read_only
        .address_space:  global
        .offset:         64
        .size:           8
        .value_kind:     global_buffer
      - .actual_access:  read_only
        .address_space:  global
        .offset:         72
        .size:           8
        .value_kind:     global_buffer
      - .address_space:  global
        .offset:         80
        .size:           8
        .value_kind:     global_buffer
    .group_segment_fixed_size: 0
    .kernarg_segment_align: 8
    .kernarg_segment_size: 88
    .language:       OpenCL C
    .language_version:
      - 2
      - 0
    .max_flat_workgroup_size: 256
    .name:           fft_rtc_back_len4096_factors_16_16_16_wgs_256_tpt_256_halfLds_dp_ip_CI_unitstride_sbrr_C2R_dirReg
    .private_segment_fixed_size: 0
    .sgpr_count:     28
    .sgpr_spill_count: 0
    .symbol:         fft_rtc_back_len4096_factors_16_16_16_wgs_256_tpt_256_halfLds_dp_ip_CI_unitstride_sbrr_C2R_dirReg.kd
    .uniform_work_group_size: 1
    .uses_dynamic_stack: false
    .vgpr_count:     99
    .vgpr_spill_count: 0
    .wavefront_size: 64
amdhsa.target:   amdgcn-amd-amdhsa--gfx950
amdhsa.version:
  - 1
  - 2
...

	.end_amdgpu_metadata
